;; amdgpu-corpus repo=ROCm/rocFFT kind=compiled arch=gfx950 opt=O3
	.text
	.amdgcn_target "amdgcn-amd-amdhsa--gfx950"
	.amdhsa_code_object_version 6
	.protected	fft_rtc_back_len756_factors_2_2_3_3_3_7_wgs_63_tpt_63_dp_ip_CI_sbrr_dirReg ; -- Begin function fft_rtc_back_len756_factors_2_2_3_3_3_7_wgs_63_tpt_63_dp_ip_CI_sbrr_dirReg
	.globl	fft_rtc_back_len756_factors_2_2_3_3_3_7_wgs_63_tpt_63_dp_ip_CI_sbrr_dirReg
	.p2align	8
	.type	fft_rtc_back_len756_factors_2_2_3_3_3_7_wgs_63_tpt_63_dp_ip_CI_sbrr_dirReg,@function
fft_rtc_back_len756_factors_2_2_3_3_3_7_wgs_63_tpt_63_dp_ip_CI_sbrr_dirReg: ; @fft_rtc_back_len756_factors_2_2_3_3_3_7_wgs_63_tpt_63_dp_ip_CI_sbrr_dirReg
; %bb.0:
	s_load_dwordx2 s[12:13], s[0:1], 0x18
	s_load_dwordx4 s[4:7], s[0:1], 0x0
	s_load_dwordx2 s[10:11], s[0:1], 0x50
	v_mul_u32_u24_e32 v1, 0x411, v0
	v_add_u32_sdwa v6, s2, v1 dst_sel:DWORD dst_unused:UNUSED_PAD src0_sel:DWORD src1_sel:WORD_1
	s_waitcnt lgkmcnt(0)
	s_load_dwordx2 s[8:9], s[12:13], 0x0
	v_mov_b32_e32 v4, 0
	v_cmp_lt_u64_e64 s[2:3], s[6:7], 2
	v_mov_b32_e32 v7, v4
	s_and_b64 vcc, exec, s[2:3]
	v_mov_b64_e32 v[2:3], 0
	s_cbranch_vccnz .LBB0_8
; %bb.1:
	s_load_dwordx2 s[2:3], s[0:1], 0x10
	s_add_u32 s14, s12, 8
	s_addc_u32 s15, s13, 0
	s_mov_b64 s[16:17], 1
	v_mov_b64_e32 v[2:3], 0
	s_waitcnt lgkmcnt(0)
	s_add_u32 s18, s2, 8
	s_addc_u32 s19, s3, 0
.LBB0_2:                                ; =>This Inner Loop Header: Depth=1
	s_load_dwordx2 s[20:21], s[18:19], 0x0
                                        ; implicit-def: $vgpr8_vgpr9
	s_waitcnt lgkmcnt(0)
	v_or_b32_e32 v5, s21, v7
	v_cmp_ne_u64_e32 vcc, 0, v[4:5]
	s_and_saveexec_b64 s[2:3], vcc
	s_xor_b64 s[22:23], exec, s[2:3]
	s_cbranch_execz .LBB0_4
; %bb.3:                                ;   in Loop: Header=BB0_2 Depth=1
	v_cvt_f32_u32_e32 v1, s20
	v_cvt_f32_u32_e32 v5, s21
	s_sub_u32 s2, 0, s20
	s_subb_u32 s3, 0, s21
	v_fmac_f32_e32 v1, 0x4f800000, v5
	v_rcp_f32_e32 v1, v1
	s_nop 0
	v_mul_f32_e32 v1, 0x5f7ffffc, v1
	v_mul_f32_e32 v5, 0x2f800000, v1
	v_trunc_f32_e32 v5, v5
	v_fmac_f32_e32 v1, 0xcf800000, v5
	v_cvt_u32_f32_e32 v5, v5
	v_cvt_u32_f32_e32 v1, v1
	v_mul_lo_u32 v8, s2, v5
	v_mul_hi_u32 v10, s2, v1
	v_mul_lo_u32 v9, s3, v1
	v_add_u32_e32 v10, v10, v8
	v_mul_lo_u32 v12, s2, v1
	v_add_u32_e32 v13, v10, v9
	v_mul_hi_u32 v8, v1, v12
	v_mul_hi_u32 v11, v1, v13
	v_mul_lo_u32 v10, v1, v13
	v_mov_b32_e32 v9, v4
	v_lshl_add_u64 v[8:9], v[8:9], 0, v[10:11]
	v_mul_hi_u32 v11, v5, v12
	v_mul_lo_u32 v12, v5, v12
	v_add_co_u32_e32 v8, vcc, v8, v12
	v_mul_hi_u32 v10, v5, v13
	s_nop 0
	v_addc_co_u32_e32 v8, vcc, v9, v11, vcc
	v_mov_b32_e32 v9, v4
	s_nop 0
	v_addc_co_u32_e32 v11, vcc, 0, v10, vcc
	v_mul_lo_u32 v10, v5, v13
	v_lshl_add_u64 v[8:9], v[8:9], 0, v[10:11]
	v_add_co_u32_e32 v1, vcc, v1, v8
	v_mul_lo_u32 v10, s2, v1
	s_nop 0
	v_addc_co_u32_e32 v5, vcc, v5, v9, vcc
	v_mul_lo_u32 v8, s2, v5
	v_mul_hi_u32 v9, s2, v1
	v_add_u32_e32 v8, v9, v8
	v_mul_lo_u32 v9, s3, v1
	v_add_u32_e32 v12, v8, v9
	v_mul_hi_u32 v14, v5, v10
	v_mul_lo_u32 v15, v5, v10
	v_mul_hi_u32 v9, v1, v12
	v_mul_lo_u32 v8, v1, v12
	v_mul_hi_u32 v10, v1, v10
	v_mov_b32_e32 v11, v4
	v_lshl_add_u64 v[8:9], v[10:11], 0, v[8:9]
	v_add_co_u32_e32 v8, vcc, v8, v15
	v_mul_hi_u32 v13, v5, v12
	s_nop 0
	v_addc_co_u32_e32 v8, vcc, v9, v14, vcc
	v_mul_lo_u32 v10, v5, v12
	s_nop 0
	v_addc_co_u32_e32 v11, vcc, 0, v13, vcc
	v_mov_b32_e32 v9, v4
	v_lshl_add_u64 v[8:9], v[8:9], 0, v[10:11]
	v_add_co_u32_e32 v1, vcc, v1, v8
	v_mul_hi_u32 v10, v6, v1
	s_nop 0
	v_addc_co_u32_e32 v5, vcc, v5, v9, vcc
	v_mad_u64_u32 v[8:9], s[2:3], v6, v5, 0
	v_mov_b32_e32 v11, v4
	v_lshl_add_u64 v[8:9], v[10:11], 0, v[8:9]
	v_mad_u64_u32 v[12:13], s[2:3], v7, v1, 0
	v_add_co_u32_e32 v1, vcc, v8, v12
	v_mad_u64_u32 v[10:11], s[2:3], v7, v5, 0
	s_nop 0
	v_addc_co_u32_e32 v8, vcc, v9, v13, vcc
	v_mov_b32_e32 v9, v4
	s_nop 0
	v_addc_co_u32_e32 v11, vcc, 0, v11, vcc
	v_lshl_add_u64 v[8:9], v[8:9], 0, v[10:11]
	v_mul_lo_u32 v1, s21, v8
	v_mul_lo_u32 v5, s20, v9
	v_mad_u64_u32 v[10:11], s[2:3], s20, v8, 0
	v_add3_u32 v1, v11, v5, v1
	v_sub_u32_e32 v5, v7, v1
	v_mov_b32_e32 v11, s21
	v_sub_co_u32_e32 v14, vcc, v6, v10
	v_lshl_add_u64 v[12:13], v[8:9], 0, 1
	s_nop 0
	v_subb_co_u32_e64 v5, s[2:3], v5, v11, vcc
	v_subrev_co_u32_e64 v10, s[2:3], s20, v14
	v_subb_co_u32_e32 v1, vcc, v7, v1, vcc
	s_nop 0
	v_subbrev_co_u32_e64 v5, s[2:3], 0, v5, s[2:3]
	v_cmp_le_u32_e64 s[2:3], s21, v5
	v_cmp_le_u32_e32 vcc, s21, v1
	s_nop 0
	v_cndmask_b32_e64 v11, 0, -1, s[2:3]
	v_cmp_le_u32_e64 s[2:3], s20, v10
	s_nop 1
	v_cndmask_b32_e64 v10, 0, -1, s[2:3]
	v_cmp_eq_u32_e64 s[2:3], s21, v5
	s_nop 1
	v_cndmask_b32_e64 v5, v11, v10, s[2:3]
	v_lshl_add_u64 v[10:11], v[8:9], 0, 2
	v_cmp_ne_u32_e64 s[2:3], 0, v5
	s_nop 1
	v_cndmask_b32_e64 v5, v13, v11, s[2:3]
	v_cndmask_b32_e64 v11, 0, -1, vcc
	v_cmp_le_u32_e32 vcc, s20, v14
	s_nop 1
	v_cndmask_b32_e64 v13, 0, -1, vcc
	v_cmp_eq_u32_e32 vcc, s21, v1
	s_nop 1
	v_cndmask_b32_e32 v1, v11, v13, vcc
	v_cmp_ne_u32_e32 vcc, 0, v1
	v_cndmask_b32_e64 v1, v12, v10, s[2:3]
	s_nop 0
	v_cndmask_b32_e32 v9, v9, v5, vcc
	v_cndmask_b32_e32 v8, v8, v1, vcc
.LBB0_4:                                ;   in Loop: Header=BB0_2 Depth=1
	s_andn2_saveexec_b64 s[2:3], s[22:23]
	s_cbranch_execz .LBB0_6
; %bb.5:                                ;   in Loop: Header=BB0_2 Depth=1
	v_cvt_f32_u32_e32 v1, s20
	s_sub_i32 s22, 0, s20
	v_rcp_iflag_f32_e32 v1, v1
	s_nop 0
	v_mul_f32_e32 v1, 0x4f7ffffe, v1
	v_cvt_u32_f32_e32 v1, v1
	v_mul_lo_u32 v5, s22, v1
	v_mul_hi_u32 v5, v1, v5
	v_add_u32_e32 v1, v1, v5
	v_mul_hi_u32 v1, v6, v1
	v_mul_lo_u32 v5, v1, s20
	v_sub_u32_e32 v5, v6, v5
	v_add_u32_e32 v8, 1, v1
	v_subrev_u32_e32 v9, s20, v5
	v_cmp_le_u32_e32 vcc, s20, v5
	s_nop 1
	v_cndmask_b32_e32 v5, v5, v9, vcc
	v_cndmask_b32_e32 v1, v1, v8, vcc
	v_add_u32_e32 v8, 1, v1
	v_cmp_le_u32_e32 vcc, s20, v5
	v_mov_b32_e32 v9, v4
	s_nop 0
	v_cndmask_b32_e32 v8, v1, v8, vcc
.LBB0_6:                                ;   in Loop: Header=BB0_2 Depth=1
	s_or_b64 exec, exec, s[2:3]
	v_mad_u64_u32 v[10:11], s[2:3], v8, s20, 0
	s_load_dwordx2 s[2:3], s[14:15], 0x0
	v_mul_lo_u32 v1, v9, s20
	v_mul_lo_u32 v5, v8, s21
	v_add3_u32 v1, v11, v5, v1
	v_sub_co_u32_e32 v5, vcc, v6, v10
	s_add_u32 s16, s16, 1
	s_nop 0
	v_subb_co_u32_e32 v1, vcc, v7, v1, vcc
	s_addc_u32 s17, s17, 0
	s_waitcnt lgkmcnt(0)
	v_mul_lo_u32 v1, s2, v1
	v_mul_lo_u32 v6, s3, v5
	v_mad_u64_u32 v[2:3], s[2:3], s2, v5, v[2:3]
	s_add_u32 s14, s14, 8
	v_add3_u32 v3, v6, v3, v1
	s_addc_u32 s15, s15, 0
	v_mov_b64_e32 v[6:7], s[6:7]
	s_add_u32 s18, s18, 8
	v_cmp_ge_u64_e32 vcc, s[16:17], v[6:7]
	s_addc_u32 s19, s19, 0
	s_cbranch_vccnz .LBB0_9
; %bb.7:                                ;   in Loop: Header=BB0_2 Depth=1
	v_mov_b64_e32 v[6:7], v[8:9]
	s_branch .LBB0_2
.LBB0_8:
	v_mov_b64_e32 v[8:9], v[6:7]
.LBB0_9:
	s_lshl_b64 s[2:3], s[6:7], 3
	s_add_u32 s2, s12, s2
	s_addc_u32 s3, s13, s3
	s_load_dwordx2 s[6:7], s[2:3], 0x0
	s_load_dwordx2 s[12:13], s[0:1], 0x20
	s_mov_b32 s2, 0x4104105
                                        ; implicit-def: $vgpr61
                                        ; implicit-def: $vgpr5
	s_waitcnt lgkmcnt(0)
	v_mul_lo_u32 v1, s6, v9
	v_mul_lo_u32 v4, s7, v8
	v_mad_u64_u32 v[2:3], s[0:1], s6, v8, v[2:3]
	v_add3_u32 v3, v4, v3, v1
	v_mul_hi_u32 v1, v0, s2
	v_mul_u32_u24_e32 v1, 63, v1
	v_sub_u32_e32 v58, v0, v1
	v_cmp_gt_u64_e32 vcc, s[12:13], v[8:9]
	v_cmp_le_u64_e64 s[0:1], s[12:13], v[8:9]
	v_add_u32_e32 v59, 63, v58
                                        ; implicit-def: $vgpr4
                                        ; implicit-def: $vgpr0
                                        ; implicit-def: $vgpr1
	s_and_saveexec_b64 s[2:3], s[0:1]
	s_xor_b64 s[0:1], exec, s[2:3]
; %bb.10:
	v_add_u32_e32 v61, 63, v58
	v_add_u32_e32 v5, 0x7e, v58
	;; [unrolled: 1-line block ×5, first 2 shown]
; %bb.11:
	s_or_saveexec_b64 s[0:1], s[0:1]
	v_lshl_add_u64 v[56:57], v[2:3], 4, s[10:11]
	s_xor_b64 exec, exec, s[0:1]
	s_cbranch_execz .LBB0_13
; %bb.12:
	v_mad_u64_u32 v[0:1], s[2:3], s8, v58, 0
	v_mov_b32_e32 v2, v1
	v_mad_u64_u32 v[2:3], s[2:3], s9, v58, v[2:3]
	v_mov_b32_e32 v1, v2
	;; [unrolled: 2-line block ×3, first 2 shown]
	v_mad_u64_u32 v[4:5], s[2:3], s9, v59, v[4:5]
	v_lshl_add_u64 v[0:1], v[0:1], 4, v[56:57]
	v_mov_b32_e32 v3, v4
	v_add_u32_e32 v5, 0x7e, v58
	v_lshl_add_u64 v[2:3], v[2:3], 4, v[56:57]
	global_load_dwordx4 v[6:9], v[0:1], off
	global_load_dwordx4 v[10:13], v[2:3], off
	v_mad_u64_u32 v[0:1], s[2:3], s8, v5, 0
	v_mov_b32_e32 v2, v1
	v_mad_u64_u32 v[2:3], s[2:3], s9, v5, v[2:3]
	v_add_u32_e32 v4, 0xbd, v58
	v_mov_b32_e32 v1, v2
	v_mad_u64_u32 v[2:3], s[2:3], s8, v4, 0
	v_mov_b32_e32 v14, v3
	v_mad_u64_u32 v[14:15], s[2:3], s9, v4, v[14:15]
	v_lshl_add_u64 v[0:1], v[0:1], 4, v[56:57]
	v_mov_b32_e32 v3, v14
	v_lshl_add_u64 v[2:3], v[2:3], 4, v[56:57]
	global_load_dwordx4 v[14:17], v[0:1], off
	global_load_dwordx4 v[18:21], v[2:3], off
	v_add_u32_e32 v0, 0xfc, v58
	v_mad_u64_u32 v[2:3], s[2:3], s8, v0, 0
	v_mov_b32_e32 v22, v3
	v_mad_u64_u32 v[22:23], s[2:3], s9, v0, v[22:23]
	v_add_u32_e32 v1, 0x13b, v58
	v_mov_b32_e32 v3, v22
	v_mad_u64_u32 v[22:23], s[2:3], s8, v1, 0
	v_mov_b32_e32 v24, v23
	v_mad_u64_u32 v[24:25], s[2:3], s9, v1, v[24:25]
	v_mov_b32_e32 v23, v24
	v_lshl_add_u64 v[2:3], v[2:3], 4, v[56:57]
	v_lshl_add_u64 v[30:31], v[22:23], 4, v[56:57]
	global_load_dwordx4 v[22:25], v[2:3], off
	global_load_dwordx4 v[26:29], v[30:31], off
	v_add_u32_e32 v31, 0x17a, v58
	v_mad_u64_u32 v[2:3], s[2:3], s8, v31, 0
	v_mov_b32_e32 v30, v3
	v_mad_u64_u32 v[30:31], s[2:3], s9, v31, v[30:31]
	v_add_u32_e32 v33, 0x1b9, v58
	v_mov_b32_e32 v3, v30
	v_mad_u64_u32 v[30:31], s[2:3], s8, v33, 0
	v_mov_b32_e32 v32, v31
	v_mad_u64_u32 v[32:33], s[2:3], s9, v33, v[32:33]
	v_mov_b32_e32 v31, v32
	v_lshl_add_u64 v[2:3], v[2:3], 4, v[56:57]
	;; [unrolled: 14-line block ×3, first 2 shown]
	v_lshl_add_u64 v[46:47], v[38:39], 4, v[56:57]
	global_load_dwordx4 v[38:41], v[2:3], off
	global_load_dwordx4 v[42:45], v[46:47], off
	v_add_u32_e32 v47, 0x276, v58
	v_mad_u64_u32 v[2:3], s[2:3], s8, v47, 0
	v_mov_b32_e32 v46, v3
	v_mad_u64_u32 v[46:47], s[2:3], s9, v47, v[46:47]
	v_add_u32_e32 v49, 0x2b5, v58
	v_mov_b32_e32 v3, v46
	v_mad_u64_u32 v[46:47], s[2:3], s8, v49, 0
	v_mov_b32_e32 v48, v47
	v_mad_u64_u32 v[48:49], s[2:3], s9, v49, v[48:49]
	v_lshl_add_u64 v[2:3], v[2:3], 4, v[56:57]
	v_mov_b32_e32 v47, v48
	v_lshl_add_u64 v[54:55], v[46:47], 4, v[56:57]
	global_load_dwordx4 v[46:49], v[2:3], off
	global_load_dwordx4 v[50:53], v[54:55], off
	v_lshl_add_u32 v2, v58, 4, 0
	v_mov_b32_e32 v61, v59
	s_waitcnt vmcnt(11)
	ds_write_b128 v2, v[6:9]
	s_waitcnt vmcnt(10)
	ds_write_b128 v2, v[10:13] offset:1008
	s_waitcnt vmcnt(9)
	ds_write_b128 v2, v[14:17] offset:2016
	;; [unrolled: 2-line block ×11, first 2 shown]
.LBB0_13:
	s_or_b64 exec, exec, s[0:1]
	v_lshlrev_b32_e32 v2, 4, v58
	v_add_u32_e32 v60, 0, v2
	s_waitcnt lgkmcnt(0)
	; wave barrier
	s_waitcnt lgkmcnt(0)
	ds_read_b128 v[6:9], v60
	ds_read_b128 v[10:13], v60 offset:1008
	ds_read_b128 v[14:17], v60 offset:6048
	;; [unrolled: 1-line block ×11, first 2 shown]
	s_waitcnt lgkmcnt(9)
	v_add_f64 v[14:15], v[6:7], -v[14:15]
	v_add_f64 v[16:17], v[8:9], -v[16:17]
	s_waitcnt lgkmcnt(8)
	v_add_f64 v[62:63], v[10:11], -v[18:19]
	v_add_f64 v[64:65], v[12:13], -v[20:21]
	v_fma_f64 v[6:7], v[6:7], 2.0, -v[14:15]
	v_fma_f64 v[8:9], v[8:9], 2.0, -v[16:17]
	;; [unrolled: 1-line block ×4, first 2 shown]
	s_waitcnt lgkmcnt(5)
	v_add_f64 v[30:31], v[22:23], -v[30:31]
	v_add_f64 v[32:33], v[24:25], -v[32:33]
	s_waitcnt lgkmcnt(4)
	v_add_f64 v[34:35], v[26:27], -v[34:35]
	v_add_f64 v[36:37], v[28:29], -v[36:37]
	;; [unrolled: 3-line block ×4, first 2 shown]
	v_add_u32_e32 v2, v60, v2
	v_lshl_add_u32 v20, v61, 5, 0
	v_and_b32_e32 v66, 1, v61
	v_fma_f64 v[22:23], v[22:23], 2.0, -v[30:31]
	v_fma_f64 v[24:25], v[24:25], 2.0, -v[32:33]
	;; [unrolled: 1-line block ×8, first 2 shown]
	s_waitcnt lgkmcnt(0)
	; wave barrier
	ds_write_b128 v2, v[6:9]
	ds_write_b128 v2, v[14:17] offset:16
	ds_write_b128 v20, v[10:13]
	ds_write_b128 v20, v[62:65] offset:16
	v_lshl_add_u32 v2, v5, 5, 0
	v_lshl_add_u32 v3, v4, 5, 0
	;; [unrolled: 1-line block ×4, first 2 shown]
	v_lshlrev_b32_e32 v6, 4, v66
	v_and_b32_e32 v67, 1, v58
	ds_write_b128 v2, v[22:25]
	ds_write_b128 v2, v[30:33] offset:16
	ds_write_b128 v3, v[26:29]
	ds_write_b128 v3, v[34:37] offset:16
	;; [unrolled: 2-line block ×4, first 2 shown]
	s_waitcnt lgkmcnt(0)
	; wave barrier
	s_waitcnt lgkmcnt(0)
	global_load_dwordx4 v[10:13], v6, s[4:5]
	v_lshlrev_b32_e32 v6, 4, v67
	global_load_dwordx4 v[14:17], v6, s[4:5]
	v_and_b32_e32 v68, 1, v4
	v_lshlrev_b32_e32 v6, 4, v68
	global_load_dwordx4 v[22:25], v6, s[4:5]
	v_and_b32_e32 v69, 1, v1
	v_lshlrev_b32_e32 v6, 4, v69
	global_load_dwordx4 v[26:29], v6, s[4:5]
	v_lshlrev_b32_e32 v7, 4, v5
	v_lshlrev_b32_e32 v8, 4, v4
	ds_read_b128 v[30:33], v60 offset:7056
	ds_read_b128 v[34:37], v60
	ds_read_b128 v[38:41], v60 offset:6048
	ds_read_b128 v[42:45], v60 offset:8064
	ds_read_b128 v[46:49], v60 offset:9072
	ds_read_b128 v[50:53], v60 offset:10080
	v_sub_u32_e32 v7, v2, v7
	v_sub_u32_e32 v8, v3, v8
	v_lshlrev_b32_e32 v21, 4, v61
	v_sub_u32_e32 v6, v20, v21
	s_movk_i32 s0, 0x7c
	v_and_b32_e32 v84, 3, v58
	v_and_b32_e32 v85, 3, v61
	;; [unrolled: 1-line block ×4, first 2 shown]
	s_mov_b32 s2, 0xe8584caa
	s_mov_b32 s3, 0xbfebb67a
	;; [unrolled: 1-line block ×4, first 2 shown]
	s_waitcnt vmcnt(3) lgkmcnt(5)
	v_mul_f64 v[2:3], v[32:33], v[12:13]
	v_mul_f64 v[12:13], v[30:31], v[12:13]
	v_fmac_f64_e32 v[2:3], v[30:31], v[10:11]
	v_fma_f64 v[54:55], v[32:33], v[10:11], -v[12:13]
	s_waitcnt vmcnt(2) lgkmcnt(3)
	v_mul_f64 v[10:11], v[38:39], v[16:17]
	v_fma_f64 v[30:31], v[40:41], v[14:15], -v[10:11]
	s_waitcnt lgkmcnt(2)
	v_mul_f64 v[62:63], v[44:45], v[16:17]
	v_mul_f64 v[10:11], v[42:43], v[16:17]
	v_fmac_f64_e32 v[62:63], v[42:43], v[14:15]
	v_fma_f64 v[42:43], v[44:45], v[14:15], -v[10:11]
	s_waitcnt vmcnt(1) lgkmcnt(1)
	v_mul_f64 v[44:45], v[48:49], v[24:25]
	v_mul_f64 v[10:11], v[46:47], v[24:25]
	;; [unrolled: 1-line block ×3, first 2 shown]
	v_fmac_f64_e32 v[44:45], v[46:47], v[22:23]
	v_fma_f64 v[46:47], v[48:49], v[22:23], -v[10:11]
	s_waitcnt lgkmcnt(0)
	v_mul_f64 v[48:49], v[52:53], v[16:17]
	v_mul_f64 v[10:11], v[50:51], v[16:17]
	v_fmac_f64_e32 v[18:19], v[38:39], v[14:15]
	v_fmac_f64_e32 v[48:49], v[50:51], v[14:15]
	v_fma_f64 v[50:51], v[52:53], v[14:15], -v[10:11]
	ds_read_b128 v[10:13], v6
	ds_read_b128 v[14:17], v60 offset:11088
	v_lshlrev_b32_e32 v22, 4, v0
	v_sub_u32_e32 v9, v9, v22
	v_lshlrev_b32_e32 v22, 4, v1
	v_sub_u32_e32 v32, v64, v22
	s_waitcnt vmcnt(0) lgkmcnt(0)
	v_mul_f64 v[52:53], v[16:17], v[28:29]
	v_fmac_f64_e32 v[52:53], v[14:15], v[26:27]
	v_mul_f64 v[14:15], v[14:15], v[28:29]
	v_fma_f64 v[64:65], v[16:17], v[26:27], -v[14:15]
	v_add_f64 v[14:15], v[34:35], -v[18:19]
	v_lshlrev_b32_e32 v18, 1, v58
	v_add_f64 v[16:17], v[36:37], -v[30:31]
	v_and_or_b32 v18, v18, s0, v67
	v_fma_f64 v[22:23], v[34:35], 2.0, -v[14:15]
	v_fma_f64 v[24:25], v[36:37], 2.0, -v[16:17]
	ds_read_b128 v[26:29], v9
	ds_read_b128 v[30:33], v32
	;; [unrolled: 1-line block ×4, first 2 shown]
	v_lshl_add_u32 v18, v18, 4, 0
	s_waitcnt lgkmcnt(0)
	; wave barrier
	s_waitcnt lgkmcnt(0)
	ds_write_b128 v18, v[22:25]
	ds_write_b128 v18, v[14:17] offset:32
	v_add_f64 v[14:15], v[10:11], -v[2:3]
	v_lshlrev_b32_e32 v2, 1, v61
	s_movk_i32 s0, 0xfc
	v_add_f64 v[16:17], v[12:13], -v[54:55]
	v_and_or_b32 v2, v2, s0, v66
	v_fma_f64 v[10:11], v[10:11], 2.0, -v[14:15]
	v_fma_f64 v[12:13], v[12:13], 2.0, -v[16:17]
	v_lshlrev_b32_e32 v3, 1, v5
	v_lshl_add_u32 v2, v2, 4, 0
	s_movk_i32 s0, 0x1fc
	v_add_f64 v[22:23], v[34:35], -v[62:63]
	v_add_f64 v[24:25], v[36:37], -v[42:43]
	ds_write_b128 v2, v[10:13]
	ds_write_b128 v2, v[14:17] offset:32
	v_and_or_b32 v2, v3, s0, v67
	v_fma_f64 v[34:35], v[34:35], 2.0, -v[22:23]
	v_fma_f64 v[36:37], v[36:37], 2.0, -v[24:25]
	v_lshlrev_b32_e32 v18, 1, v4
	v_lshl_add_u32 v2, v2, 4, 0
	v_lshlrev_b32_e32 v0, 1, v0
	ds_write_b128 v2, v[34:37]
	ds_write_b128 v2, v[22:25] offset:32
	v_and_or_b32 v2, v18, s0, v68
	s_movk_i32 s0, 0x3fc
	v_add_f64 v[42:43], v[38:39], -v[44:45]
	v_add_f64 v[44:45], v[40:41], -v[46:47]
	;; [unrolled: 1-line block ×4, first 2 shown]
	v_and_or_b32 v0, v0, s0, v67
	v_fma_f64 v[38:39], v[38:39], 2.0, -v[42:43]
	v_fma_f64 v[40:41], v[40:41], 2.0, -v[44:45]
	;; [unrolled: 1-line block ×4, first 2 shown]
	v_lshlrev_b32_e32 v1, 1, v1
	v_lshl_add_u32 v2, v2, 4, 0
	v_lshl_add_u32 v0, v0, 4, 0
	s_movk_i32 s0, 0x2fc
	v_add_f64 v[50:51], v[30:31], -v[52:53]
	v_add_f64 v[52:53], v[32:33], -v[64:65]
	ds_write_b128 v2, v[38:41]
	ds_write_b128 v2, v[42:45] offset:32
	ds_write_b128 v0, v[26:29]
	ds_write_b128 v0, v[46:49] offset:32
	v_and_or_b32 v0, v1, s0, v69
	v_fma_f64 v[30:31], v[30:31], 2.0, -v[50:51]
	v_fma_f64 v[32:33], v[32:33], 2.0, -v[52:53]
	v_lshl_add_u32 v0, v0, 4, 0
	ds_write_b128 v0, v[30:33]
	ds_write_b128 v0, v[50:53] offset:32
	v_lshlrev_b32_e32 v0, 5, v84
	s_waitcnt lgkmcnt(0)
	; wave barrier
	s_waitcnt lgkmcnt(0)
	global_load_dwordx4 v[10:13], v0, s[4:5] offset:32
	global_load_dwordx4 v[14:17], v0, s[4:5] offset:48
	v_lshlrev_b32_e32 v0, 5, v85
	global_load_dwordx4 v[22:25], v0, s[4:5] offset:32
	global_load_dwordx4 v[26:29], v0, s[4:5] offset:48
	v_lshlrev_b32_e32 v0, 5, v86
	;; [unrolled: 3-line block ×3, first 2 shown]
	global_load_dwordx4 v[38:41], v0, s[4:5] offset:32
	global_load_dwordx4 v[42:45], v0, s[4:5] offset:48
	ds_read_b128 v[46:49], v9
	ds_read_b128 v[0:3], v8
	ds_read_b128 v[50:53], v60 offset:8064
	s_movk_i32 s0, 0xab
	s_waitcnt vmcnt(7) lgkmcnt(2)
	v_mul_f64 v[18:19], v[48:49], v[12:13]
	v_mul_f64 v[12:13], v[46:47], v[12:13]
	v_fmac_f64_e32 v[18:19], v[46:47], v[10:11]
	v_fma_f64 v[54:55], v[48:49], v[10:11], -v[12:13]
	ds_read_b128 v[10:13], v60 offset:9072
	ds_read_b128 v[46:49], v60 offset:5040
	s_waitcnt vmcnt(6) lgkmcnt(2)
	v_mul_f64 v[62:63], v[52:53], v[16:17]
	v_mul_f64 v[16:17], v[50:51], v[16:17]
	v_fmac_f64_e32 v[62:63], v[50:51], v[14:15]
	v_fma_f64 v[50:51], v[52:53], v[14:15], -v[16:17]
	ds_read_b128 v[14:17], v60
	s_waitcnt vmcnt(5) lgkmcnt(1)
	v_mul_f64 v[52:53], v[48:49], v[24:25]
	v_mul_f64 v[24:25], v[46:47], v[24:25]
	v_fmac_f64_e32 v[52:53], v[46:47], v[22:23]
	v_fma_f64 v[64:65], v[48:49], v[22:23], -v[24:25]
	ds_read_b128 v[22:25], v60 offset:6048
	ds_read_b128 v[46:49], v60 offset:7056
	s_waitcnt vmcnt(4)
	v_mul_f64 v[66:67], v[12:13], v[28:29]
	v_fmac_f64_e32 v[66:67], v[10:11], v[26:27]
	v_mul_f64 v[10:11], v[10:11], v[28:29]
	v_fma_f64 v[68:69], v[12:13], v[26:27], -v[10:11]
	s_waitcnt vmcnt(3) lgkmcnt(1)
	v_mul_f64 v[70:71], v[24:25], v[32:33]
	ds_read_b128 v[10:13], v60 offset:10080
	v_fmac_f64_e32 v[70:71], v[22:23], v[30:31]
	v_mul_f64 v[22:23], v[22:23], v[32:33]
	v_fma_f64 v[72:73], v[24:25], v[30:31], -v[22:23]
	ds_read_b128 v[22:25], v60 offset:11088
	s_waitcnt vmcnt(2) lgkmcnt(1)
	v_mul_f64 v[74:75], v[12:13], v[36:37]
	v_fmac_f64_e32 v[74:75], v[10:11], v[34:35]
	v_mul_f64 v[10:11], v[10:11], v[36:37]
	v_fma_f64 v[76:77], v[12:13], v[34:35], -v[10:11]
	s_waitcnt vmcnt(1)
	v_mul_f64 v[10:11], v[46:47], v[40:41]
	s_waitcnt vmcnt(0) lgkmcnt(0)
	v_mul_f64 v[80:81], v[24:25], v[44:45]
	v_mul_f64 v[78:79], v[48:49], v[40:41]
	v_fma_f64 v[48:49], v[48:49], v[38:39], -v[10:11]
	v_fmac_f64_e32 v[80:81], v[22:23], v[42:43]
	v_mul_f64 v[10:11], v[22:23], v[44:45]
	v_lshrrev_b32_e32 v22, 2, v58
	v_mul_u32_u24_e32 v22, 12, v22
	v_fma_f64 v[82:83], v[24:25], v[42:43], -v[10:11]
	v_add_f64 v[10:11], v[14:15], v[18:19]
	v_add_f64 v[12:13], v[16:17], v[54:55]
	v_or_b32_e32 v30, v22, v84
	v_add_f64 v[10:11], v[10:11], v[62:63]
	v_add_f64 v[12:13], v[12:13], v[50:51]
	v_lshl_add_u32 v84, v30, 4, 0
	ds_read_b128 v[22:25], v6
	ds_read_b128 v[26:29], v7
	s_waitcnt lgkmcnt(0)
	; wave barrier
	s_waitcnt lgkmcnt(0)
	ds_write_b128 v84, v[10:13]
	v_add_f64 v[10:11], v[18:19], v[62:63]
	v_fmac_f64_e32 v[14:15], -0.5, v[10:11]
	v_add_f64 v[12:13], v[54:55], -v[50:51]
	v_fma_f64 v[10:11], s[2:3], v[12:13], v[14:15]
	v_fmac_f64_e32 v[14:15], s[6:7], v[12:13]
	v_add_f64 v[12:13], v[54:55], v[50:51]
	v_fmac_f64_e32 v[16:17], -0.5, v[12:13]
	v_add_f64 v[18:19], v[18:19], -v[62:63]
	v_fma_f64 v[12:13], s[6:7], v[18:19], v[16:17]
	v_fmac_f64_e32 v[16:17], s[2:3], v[18:19]
	v_add_f64 v[18:19], v[22:23], v[52:53]
	ds_write_b128 v84, v[10:13] offset:64
	ds_write_b128 v84, v[14:17] offset:128
	v_lshrrev_b32_e32 v10, 2, v61
	v_add_f64 v[34:35], v[18:19], v[66:67]
	v_add_f64 v[18:19], v[24:25], v[64:65]
	v_mul_lo_u32 v10, v10, 12
	v_add_f64 v[30:31], v[52:53], v[66:67]
	v_add_f64 v[36:37], v[18:19], v[68:69]
	;; [unrolled: 1-line block ×3, first 2 shown]
	v_or_b32_e32 v10, v10, v85
	v_fmac_f64_e32 v[22:23], -0.5, v[30:31]
	v_add_f64 v[32:33], v[64:65], -v[68:69]
	v_fmac_f64_e32 v[24:25], -0.5, v[18:19]
	v_add_f64 v[18:19], v[52:53], -v[66:67]
	v_lshl_add_u32 v10, v10, 4, 0
	v_fma_f64 v[30:31], s[2:3], v[32:33], v[22:23]
	v_fmac_f64_e32 v[22:23], s[6:7], v[32:33]
	v_fma_f64 v[32:33], s[6:7], v[18:19], v[24:25]
	v_fmac_f64_e32 v[24:25], s[2:3], v[18:19]
	v_add_f64 v[18:19], v[26:27], v[70:71]
	ds_write_b128 v10, v[34:37]
	ds_write_b128 v10, v[30:33] offset:64
	ds_write_b128 v10, v[22:25] offset:128
	v_lshrrev_b32_e32 v10, 2, v5
	v_add_f64 v[42:43], v[18:19], v[74:75]
	v_add_f64 v[18:19], v[28:29], v[72:73]
	v_mul_lo_u32 v10, v10, 12
	v_fmac_f64_e32 v[78:79], v[46:47], v[38:39]
	v_add_f64 v[38:39], v[70:71], v[74:75]
	v_add_f64 v[44:45], v[18:19], v[76:77]
	;; [unrolled: 1-line block ×3, first 2 shown]
	v_or_b32_e32 v10, v10, v86
	v_fmac_f64_e32 v[26:27], -0.5, v[38:39]
	v_add_f64 v[40:41], v[72:73], -v[76:77]
	v_fmac_f64_e32 v[28:29], -0.5, v[18:19]
	v_add_f64 v[18:19], v[70:71], -v[74:75]
	v_add_f64 v[46:47], v[78:79], v[80:81]
	v_lshl_add_u32 v10, v10, 4, 0
	v_fma_f64 v[38:39], s[2:3], v[40:41], v[26:27]
	v_fmac_f64_e32 v[26:27], s[6:7], v[40:41]
	v_fma_f64 v[40:41], s[6:7], v[18:19], v[28:29]
	v_fmac_f64_e32 v[28:29], s[2:3], v[18:19]
	v_add_f64 v[18:19], v[0:1], v[78:79]
	v_fmac_f64_e32 v[0:1], -0.5, v[46:47]
	v_add_f64 v[50:51], v[48:49], -v[82:83]
	ds_write_b128 v10, v[42:45]
	ds_write_b128 v10, v[38:41] offset:64
	ds_write_b128 v10, v[26:29] offset:128
	v_lshrrev_b32_e32 v10, 2, v4
	v_fma_f64 v[46:47], s[2:3], v[50:51], v[0:1]
	v_fmac_f64_e32 v[0:1], s[6:7], v[50:51]
	v_add_f64 v[50:51], v[18:19], v[80:81]
	v_add_f64 v[18:19], v[2:3], v[48:49]
	v_mul_lo_u32 v10, v10, 12
	v_add_f64 v[52:53], v[18:19], v[82:83]
	v_add_f64 v[18:19], v[48:49], v[82:83]
	v_or_b32_e32 v10, v10, v87
	v_fmac_f64_e32 v[2:3], -0.5, v[18:19]
	v_add_f64 v[18:19], v[78:79], -v[80:81]
	v_lshl_add_u32 v10, v10, 4, 0
	v_fma_f64 v[48:49], s[6:7], v[18:19], v[2:3]
	v_fmac_f64_e32 v[2:3], s[2:3], v[18:19]
	ds_write_b128 v10, v[50:53]
	ds_write_b128 v10, v[46:49] offset:64
	ds_write_b128 v10, v[0:3] offset:128
	v_mul_lo_u16_sdwa v0, v58, s0 dst_sel:DWORD dst_unused:UNUSED_PAD src0_sel:BYTE_0 src1_sel:DWORD
	v_lshrrev_b16_e32 v11, 11, v0
	v_mul_lo_u16_e32 v0, 12, v11
	v_sub_u16_e32 v84, v58, v0
	v_mov_b32_e32 v10, 5
	v_lshlrev_b32_sdwa v0, v10, v84 dst_sel:DWORD dst_unused:UNUSED_PAD src0_sel:DWORD src1_sel:BYTE_0
	s_waitcnt lgkmcnt(0)
	; wave barrier
	s_waitcnt lgkmcnt(0)
	global_load_dwordx4 v[12:15], v0, s[4:5] offset:160
	global_load_dwordx4 v[16:19], v0, s[4:5] offset:176
	v_mul_lo_u16_sdwa v0, v61, s0 dst_sel:DWORD dst_unused:UNUSED_PAD src0_sel:BYTE_0 src1_sel:DWORD
	v_lshrrev_b16_e32 v85, 11, v0
	v_mul_lo_u16_e32 v0, 12, v85
	v_sub_u16_e32 v86, v61, v0
	v_lshlrev_b32_sdwa v0, v10, v86 dst_sel:DWORD dst_unused:UNUSED_PAD src0_sel:DWORD src1_sel:BYTE_0
	global_load_dwordx4 v[22:25], v0, s[4:5] offset:160
	global_load_dwordx4 v[26:29], v0, s[4:5] offset:176
	v_mul_lo_u16_sdwa v0, v5, s0 dst_sel:DWORD dst_unused:UNUSED_PAD src0_sel:BYTE_0 src1_sel:DWORD
	v_lshrrev_b16_e32 v87, 11, v0
	v_mul_lo_u16_e32 v0, 12, v87
	v_sub_u16_e32 v88, v5, v0
	v_lshlrev_b32_sdwa v0, v10, v88 dst_sel:DWORD dst_unused:UNUSED_PAD src0_sel:DWORD src1_sel:BYTE_0
	;; [unrolled: 7-line block ×3, first 2 shown]
	global_load_dwordx4 v[38:41], v0, s[4:5] offset:160
	global_load_dwordx4 v[42:45], v0, s[4:5] offset:176
	ds_read_b128 v[46:49], v9
	ds_read_b128 v[0:3], v8
	ds_read_b128 v[50:53], v60 offset:8064
	v_mul_u32_u24_e32 v11, 0x240, v11
	v_cmp_gt_u32_e64 s[0:1], 36, v58
	s_waitcnt vmcnt(7) lgkmcnt(2)
	v_mul_f64 v[54:55], v[48:49], v[14:15]
	v_mul_f64 v[14:15], v[46:47], v[14:15]
	v_fmac_f64_e32 v[54:55], v[46:47], v[12:13]
	v_fma_f64 v[62:63], v[48:49], v[12:13], -v[14:15]
	ds_read_b128 v[12:15], v60 offset:9072
	ds_read_b128 v[46:49], v60 offset:5040
	s_waitcnt vmcnt(6) lgkmcnt(2)
	v_mul_f64 v[64:65], v[52:53], v[18:19]
	v_mul_f64 v[18:19], v[50:51], v[18:19]
	v_fmac_f64_e32 v[64:65], v[50:51], v[16:17]
	v_fma_f64 v[50:51], v[52:53], v[16:17], -v[18:19]
	ds_read_b128 v[16:19], v60
	s_waitcnt vmcnt(5) lgkmcnt(1)
	v_mul_f64 v[52:53], v[48:49], v[24:25]
	v_mul_f64 v[24:25], v[46:47], v[24:25]
	v_fmac_f64_e32 v[52:53], v[46:47], v[22:23]
	v_fma_f64 v[46:47], v[48:49], v[22:23], -v[24:25]
	ds_read_b128 v[22:25], v60 offset:6048
	s_waitcnt vmcnt(4)
	v_mul_f64 v[48:49], v[14:15], v[28:29]
	v_fmac_f64_e32 v[48:49], v[12:13], v[26:27]
	v_mul_f64 v[12:13], v[12:13], v[28:29]
	v_fma_f64 v[66:67], v[14:15], v[26:27], -v[12:13]
	ds_read_b128 v[12:15], v60 offset:7056
	s_waitcnt vmcnt(3) lgkmcnt(1)
	v_mul_f64 v[68:69], v[24:25], v[32:33]
	v_fmac_f64_e32 v[68:69], v[22:23], v[30:31]
	v_mul_f64 v[22:23], v[22:23], v[32:33]
	ds_read_b128 v[26:29], v60 offset:10080
	v_fma_f64 v[70:71], v[24:25], v[30:31], -v[22:23]
	ds_read_b128 v[22:25], v60 offset:11088
	s_waitcnt vmcnt(1) lgkmcnt(2)
	v_mul_f64 v[76:77], v[14:15], v[40:41]
	v_fmac_f64_e32 v[76:77], v[12:13], v[38:39]
	v_mul_f64 v[12:13], v[12:13], v[40:41]
	v_fma_f64 v[78:79], v[14:15], v[38:39], -v[12:13]
	s_waitcnt vmcnt(0) lgkmcnt(0)
	v_mul_f64 v[80:81], v[24:25], v[44:45]
	v_fmac_f64_e32 v[80:81], v[22:23], v[42:43]
	v_mul_f64 v[12:13], v[22:23], v[44:45]
	v_mov_b32_e32 v22, 4
	v_mul_f64 v[72:73], v[28:29], v[36:37]
	v_fma_f64 v[82:83], v[24:25], v[42:43], -v[12:13]
	v_add_f64 v[12:13], v[16:17], v[54:55]
	v_add_f64 v[14:15], v[18:19], v[62:63]
	v_lshlrev_b32_sdwa v23, v22, v84 dst_sel:DWORD dst_unused:UNUSED_PAD src0_sel:DWORD src1_sel:BYTE_0
	v_fmac_f64_e32 v[72:73], v[26:27], v[34:35]
	v_mul_f64 v[26:27], v[26:27], v[36:37]
	v_add_f64 v[12:13], v[12:13], v[64:65]
	v_add_f64 v[14:15], v[14:15], v[50:51]
	v_add3_u32 v11, 0, v11, v23
	v_fma_f64 v[74:75], v[28:29], v[34:35], -v[26:27]
	ds_read_b128 v[24:27], v6
	ds_read_b128 v[28:31], v7
	s_waitcnt lgkmcnt(0)
	; wave barrier
	s_waitcnt lgkmcnt(0)
	ds_write_b128 v11, v[12:15]
	v_add_f64 v[12:13], v[54:55], v[64:65]
	v_fmac_f64_e32 v[16:17], -0.5, v[12:13]
	v_add_f64 v[12:13], v[62:63], v[50:51]
	v_add_f64 v[32:33], v[62:63], -v[50:51]
	v_fmac_f64_e32 v[18:19], -0.5, v[12:13]
	v_add_f64 v[34:35], v[54:55], -v[64:65]
	v_fma_f64 v[12:13], s[2:3], v[32:33], v[16:17]
	v_fma_f64 v[14:15], s[6:7], v[34:35], v[18:19]
	ds_write_b128 v11, v[12:15] offset:192
	v_add_f64 v[12:13], v[52:53], v[48:49]
	v_fmac_f64_e32 v[16:17], s[6:7], v[32:33]
	v_add_f64 v[14:15], v[24:25], v[52:53]
	v_fmac_f64_e32 v[24:25], -0.5, v[12:13]
	v_add_f64 v[32:33], v[46:47], -v[66:67]
	v_fma_f64 v[12:13], s[2:3], v[32:33], v[24:25]
	v_fmac_f64_e32 v[24:25], s[6:7], v[32:33]
	v_add_f64 v[32:33], v[14:15], v[48:49]
	v_add_f64 v[14:15], v[26:27], v[46:47]
	v_fmac_f64_e32 v[18:19], s[2:3], v[34:35]
	v_add_f64 v[34:35], v[14:15], v[66:67]
	v_add_f64 v[14:15], v[46:47], v[66:67]
	v_fmac_f64_e32 v[26:27], -0.5, v[14:15]
	v_add_f64 v[36:37], v[52:53], -v[48:49]
	v_fma_f64 v[14:15], s[6:7], v[36:37], v[26:27]
	v_fmac_f64_e32 v[26:27], s[2:3], v[36:37]
	v_add_f64 v[36:37], v[68:69], v[72:73]
	v_add_f64 v[38:39], v[28:29], v[68:69]
	v_fmac_f64_e32 v[28:29], -0.5, v[36:37]
	v_add_f64 v[40:41], v[70:71], -v[74:75]
	v_fma_f64 v[36:37], s[2:3], v[40:41], v[28:29]
	v_fmac_f64_e32 v[28:29], s[6:7], v[40:41]
	v_add_f64 v[40:41], v[38:39], v[72:73]
	v_add_f64 v[38:39], v[30:31], v[70:71]
	;; [unrolled: 1-line block ×4, first 2 shown]
	v_fmac_f64_e32 v[30:31], -0.5, v[38:39]
	v_add_f64 v[44:45], v[68:69], -v[72:73]
	ds_write_b128 v11, v[16:19] offset:384
	v_mul_u32_u24_e32 v11, 0x240, v85
	v_lshlrev_b32_sdwa v16, v22, v86 dst_sel:DWORD dst_unused:UNUSED_PAD src0_sel:DWORD src1_sel:BYTE_0
	v_fma_f64 v[38:39], s[6:7], v[44:45], v[30:31]
	v_fmac_f64_e32 v[30:31], s[2:3], v[44:45]
	v_add_f64 v[44:45], v[76:77], v[80:81]
	v_add3_u32 v11, 0, v11, v16
	v_add_f64 v[46:47], v[0:1], v[76:77]
	v_fmac_f64_e32 v[0:1], -0.5, v[44:45]
	v_add_f64 v[48:49], v[78:79], -v[82:83]
	ds_write_b128 v11, v[32:35]
	ds_write_b128 v11, v[12:15] offset:192
	ds_write_b128 v11, v[24:27] offset:384
	v_mul_u32_u24_e32 v11, 0x240, v87
	v_lshlrev_b32_sdwa v12, v22, v88 dst_sel:DWORD dst_unused:UNUSED_PAD src0_sel:DWORD src1_sel:BYTE_0
	v_fma_f64 v[44:45], s[2:3], v[48:49], v[0:1]
	v_fmac_f64_e32 v[0:1], s[6:7], v[48:49]
	v_add_f64 v[48:49], v[46:47], v[80:81]
	v_add_f64 v[46:47], v[2:3], v[78:79]
	v_add3_u32 v11, 0, v11, v12
	v_add_f64 v[50:51], v[46:47], v[82:83]
	v_add_f64 v[46:47], v[78:79], v[82:83]
	ds_write_b128 v11, v[40:43]
	ds_write_b128 v11, v[36:39] offset:192
	ds_write_b128 v11, v[28:31] offset:384
	v_mul_u32_u24_e32 v11, 0x240, v89
	v_lshlrev_b32_sdwa v12, v22, v90 dst_sel:DWORD dst_unused:UNUSED_PAD src0_sel:DWORD src1_sel:BYTE_0
	v_fmac_f64_e32 v[2:3], -0.5, v[46:47]
	v_add_f64 v[52:53], v[76:77], -v[80:81]
	v_add3_u32 v11, 0, v11, v12
	v_fma_f64 v[46:47], s[6:7], v[52:53], v[2:3]
	v_fmac_f64_e32 v[2:3], s[2:3], v[52:53]
	ds_write_b128 v11, v[48:51]
	ds_write_b128 v11, v[44:47] offset:192
	ds_write_b128 v11, v[0:3] offset:384
	v_subrev_u32_e32 v0, 36, v58
	v_cndmask_b32_e64 v23, v0, v58, s[0:1]
	v_lshlrev_b32_e32 v0, 1, v23
	v_mov_b32_e32 v1, 0
	v_lshl_add_u64 v[0:1], v[0:1], 4, s[4:5]
	s_waitcnt lgkmcnt(0)
	; wave barrier
	s_waitcnt lgkmcnt(0)
	global_load_dwordx4 v[12:15], v[0:1], off offset:544
	global_load_dwordx4 v[16:19], v[0:1], off offset:560
	v_mov_b32_e32 v0, 57
	v_mul_lo_u16_sdwa v1, v61, v0 dst_sel:DWORD dst_unused:UNUSED_PAD src0_sel:BYTE_0 src1_sel:DWORD
	v_lshrrev_b16_e32 v84, 11, v1
	v_mul_lo_u16_e32 v1, 36, v84
	v_sub_u16_e32 v85, v61, v1
	v_lshlrev_b32_sdwa v1, v10, v85 dst_sel:DWORD dst_unused:UNUSED_PAD src0_sel:DWORD src1_sel:BYTE_0
	global_load_dwordx4 v[24:27], v1, s[4:5] offset:544
	global_load_dwordx4 v[28:31], v1, s[4:5] offset:560
	v_mul_lo_u16_sdwa v1, v5, v0 dst_sel:DWORD dst_unused:UNUSED_PAD src0_sel:BYTE_0 src1_sel:DWORD
	v_lshrrev_b16_e32 v86, 11, v1
	v_mul_lo_u16_e32 v1, 36, v86
	v_sub_u16_e32 v87, v5, v1
	v_lshlrev_b32_sdwa v1, v10, v87 dst_sel:DWORD dst_unused:UNUSED_PAD src0_sel:DWORD src1_sel:BYTE_0
	global_load_dwordx4 v[32:35], v1, s[4:5] offset:544
	global_load_dwordx4 v[36:39], v1, s[4:5] offset:560
	;; [unrolled: 7-line block ×3, first 2 shown]
	ds_read_b128 v[48:51], v9
	ds_read_b128 v[0:3], v8
	ds_read_b128 v[8:11], v60 offset:8064
	ds_read_b128 v[52:55], v60
	v_cmp_lt_u32_e64 s[0:1], 35, v58
	s_waitcnt vmcnt(7) lgkmcnt(3)
	v_mul_f64 v[4:5], v[50:51], v[14:15]
	v_mul_f64 v[14:15], v[48:49], v[14:15]
	v_fmac_f64_e32 v[4:5], v[48:49], v[12:13]
	v_fma_f64 v[62:63], v[50:51], v[12:13], -v[14:15]
	ds_read_b128 v[12:15], v60 offset:9072
	ds_read_b128 v[48:51], v60 offset:5040
	s_waitcnt vmcnt(6) lgkmcnt(3)
	v_mul_f64 v[64:65], v[10:11], v[18:19]
	v_fmac_f64_e32 v[64:65], v[8:9], v[16:17]
	v_mul_f64 v[8:9], v[8:9], v[18:19]
	v_fma_f64 v[66:67], v[10:11], v[16:17], -v[8:9]
	s_waitcnt vmcnt(5) lgkmcnt(0)
	v_mul_f64 v[68:69], v[50:51], v[26:27]
	v_mul_f64 v[8:9], v[48:49], v[26:27]
	v_fmac_f64_e32 v[68:69], v[48:49], v[24:25]
	v_fma_f64 v[48:49], v[50:51], v[24:25], -v[8:9]
	ds_read_b128 v[8:11], v60 offset:6048
	ds_read_b128 v[16:19], v60 offset:7056
	s_waitcnt vmcnt(4)
	v_mul_f64 v[50:51], v[14:15], v[30:31]
	v_fmac_f64_e32 v[50:51], v[12:13], v[28:29]
	v_mul_f64 v[12:13], v[12:13], v[30:31]
	s_waitcnt vmcnt(3) lgkmcnt(1)
	v_mul_f64 v[72:73], v[10:11], v[34:35]
	v_fmac_f64_e32 v[72:73], v[8:9], v[32:33]
	v_mul_f64 v[8:9], v[8:9], v[34:35]
	v_fma_f64 v[70:71], v[14:15], v[28:29], -v[12:13]
	ds_read_b128 v[12:15], v60 offset:10080
	v_fma_f64 v[74:75], v[10:11], v[32:33], -v[8:9]
	ds_read_b128 v[8:11], v60 offset:11088
	s_waitcnt vmcnt(1) lgkmcnt(2)
	v_mul_f64 v[80:81], v[18:19], v[42:43]
	v_fmac_f64_e32 v[80:81], v[16:17], v[40:41]
	s_waitcnt lgkmcnt(1)
	v_mul_f64 v[76:77], v[14:15], v[38:39]
	v_fmac_f64_e32 v[76:77], v[12:13], v[36:37]
	s_waitcnt vmcnt(0) lgkmcnt(0)
	v_mul_f64 v[82:83], v[10:11], v[46:47]
	v_mul_f64 v[12:13], v[12:13], v[38:39]
	v_fmac_f64_e32 v[82:83], v[8:9], v[44:45]
	v_mul_f64 v[8:9], v[8:9], v[46:47]
	v_fma_f64 v[78:79], v[14:15], v[36:37], -v[12:13]
	v_mul_f64 v[12:13], v[16:17], v[42:43]
	v_fma_f64 v[44:45], v[10:11], v[44:45], -v[8:9]
	v_add_f64 v[8:9], v[52:53], v[4:5]
	v_fma_f64 v[18:19], v[18:19], v[40:41], -v[12:13]
	v_add_f64 v[12:13], v[8:9], v[64:65]
	v_add_f64 v[8:9], v[54:55], v[62:63]
	;; [unrolled: 1-line block ×3, first 2 shown]
	v_mov_b32_e32 v8, 0x6c0
	v_cndmask_b32_e64 v8, 0, v8, s[0:1]
	v_lshlrev_b32_e32 v9, 4, v23
	v_add3_u32 v23, 0, v8, v9
	ds_read_b128 v[24:27], v6
	ds_read_b128 v[8:11], v7
	v_add_f64 v[6:7], v[4:5], v[64:65]
	v_fmac_f64_e32 v[52:53], -0.5, v[6:7]
	v_add_f64 v[6:7], v[62:63], -v[66:67]
	v_fma_f64 v[28:29], s[2:3], v[6:7], v[52:53]
	v_fmac_f64_e32 v[52:53], s[6:7], v[6:7]
	v_add_f64 v[6:7], v[62:63], v[66:67]
	v_fmac_f64_e32 v[54:55], -0.5, v[6:7]
	v_add_f64 v[4:5], v[4:5], -v[64:65]
	v_fma_f64 v[30:31], s[6:7], v[4:5], v[54:55]
	v_fmac_f64_e32 v[54:55], s[2:3], v[4:5]
	s_waitcnt lgkmcnt(1)
	v_add_f64 v[4:5], v[24:25], v[68:69]
	v_add_f64 v[6:7], v[68:69], v[50:51]
	;; [unrolled: 1-line block ×4, first 2 shown]
	v_fmac_f64_e32 v[24:25], -0.5, v[6:7]
	v_add_f64 v[6:7], v[48:49], -v[70:71]
	v_add_f64 v[38:39], v[4:5], v[70:71]
	v_add_f64 v[4:5], v[48:49], v[70:71]
	v_fma_f64 v[32:33], s[2:3], v[6:7], v[24:25]
	v_fmac_f64_e32 v[24:25], s[6:7], v[6:7]
	v_fmac_f64_e32 v[26:27], -0.5, v[4:5]
	v_add_f64 v[4:5], v[68:69], -v[50:51]
	s_waitcnt lgkmcnt(0)
	v_add_f64 v[6:7], v[8:9], v[72:73]
	s_waitcnt lgkmcnt(0)
	; wave barrier
	ds_write_b128 v23, v[12:15]
	v_fma_f64 v[34:35], s[6:7], v[4:5], v[26:27]
	v_fmac_f64_e32 v[26:27], s[2:3], v[4:5]
	v_add_f64 v[4:5], v[72:73], v[76:77]
	v_add_f64 v[40:41], v[6:7], v[76:77]
	;; [unrolled: 1-line block ×3, first 2 shown]
	ds_write_b128 v23, v[28:31] offset:576
	ds_write_b128 v23, v[52:55] offset:1152
	v_mul_u32_u24_e32 v23, 0x6c0, v84
	v_lshlrev_b32_sdwa v28, v22, v85 dst_sel:DWORD dst_unused:UNUSED_PAD src0_sel:DWORD src1_sel:BYTE_0
	v_fmac_f64_e32 v[8:9], -0.5, v[4:5]
	v_add_f64 v[12:13], v[74:75], -v[78:79]
	v_add_f64 v[42:43], v[6:7], v[78:79]
	v_add_f64 v[6:7], v[74:75], v[78:79]
	v_add3_u32 v23, 0, v23, v28
	v_fma_f64 v[4:5], s[2:3], v[12:13], v[8:9]
	v_fmac_f64_e32 v[8:9], s[6:7], v[12:13]
	v_fmac_f64_e32 v[10:11], -0.5, v[6:7]
	v_add_f64 v[12:13], v[72:73], -v[76:77]
	v_add_f64 v[14:15], v[80:81], v[82:83]
	ds_write_b128 v23, v[36:39]
	ds_write_b128 v23, v[32:35] offset:576
	ds_write_b128 v23, v[24:27] offset:1152
	v_mul_u32_u24_e32 v23, 0x6c0, v86
	v_lshlrev_b32_sdwa v24, v22, v87 dst_sel:DWORD dst_unused:UNUSED_PAD src0_sel:DWORD src1_sel:BYTE_0
	v_fma_f64 v[6:7], s[6:7], v[12:13], v[10:11]
	v_fmac_f64_e32 v[10:11], s[2:3], v[12:13]
	v_add_f64 v[12:13], v[0:1], v[80:81]
	v_fmac_f64_e32 v[0:1], -0.5, v[14:15]
	v_add_f64 v[14:15], v[18:19], -v[44:45]
	v_add3_u32 v23, 0, v23, v24
	v_fma_f64 v[16:17], s[2:3], v[14:15], v[0:1]
	v_fmac_f64_e32 v[0:1], s[6:7], v[14:15]
	v_add_f64 v[14:15], v[2:3], v[18:19]
	v_add_f64 v[18:19], v[18:19], v[44:45]
	ds_write_b128 v23, v[40:43]
	ds_write_b128 v23, v[4:7] offset:576
	ds_write_b128 v23, v[8:11] offset:1152
	v_mul_u32_u24_e32 v23, 0x6c0, v88
	v_lshlrev_b32_sdwa v22, v22, v89 dst_sel:DWORD dst_unused:UNUSED_PAD src0_sel:DWORD src1_sel:BYTE_0
	v_add_f64 v[12:13], v[12:13], v[82:83]
	v_add_f64 v[14:15], v[14:15], v[44:45]
	v_fmac_f64_e32 v[2:3], -0.5, v[18:19]
	v_add_f64 v[44:45], v[80:81], -v[82:83]
	v_add3_u32 v22, 0, v23, v22
	v_fma_f64 v[18:19], s[6:7], v[44:45], v[2:3]
	v_fmac_f64_e32 v[2:3], s[2:3], v[44:45]
	ds_write_b128 v22, v[12:15]
	ds_write_b128 v22, v[16:19] offset:576
	ds_write_b128 v22, v[0:3] offset:1152
	s_waitcnt lgkmcnt(0)
	; wave barrier
	s_waitcnt lgkmcnt(0)
	ds_read_b128 v[28:31], v60
	ds_read_b128 v[52:55], v60 offset:1728
	ds_read_b128 v[48:51], v60 offset:3456
	;; [unrolled: 1-line block ×6, first 2 shown]
	v_cmp_gt_u32_e64 s[0:1], 45, v58
                                        ; implicit-def: $vgpr26_vgpr27
                                        ; implicit-def: $vgpr22_vgpr23
	s_and_saveexec_b64 s[2:3], s[0:1]
	s_cbranch_execz .LBB0_15
; %bb.14:
	v_sub_u32_e32 v0, 0, v21
	v_add_u32_e32 v0, v20, v0
	ds_read_b128 v[4:7], v0
	ds_read_b128 v[8:11], v60 offset:2736
	ds_read_b128 v[12:15], v60 offset:4464
	;; [unrolled: 1-line block ×6, first 2 shown]
.LBB0_15:
	s_or_b64 exec, exec, s[2:3]
	v_mul_u32_u24_e32 v62, 6, v58
	v_lshlrev_b32_e32 v86, 4, v62
	global_load_dwordx4 v[62:65], v86, s[4:5] offset:1696
	global_load_dwordx4 v[66:69], v86, s[4:5] offset:1712
	;; [unrolled: 1-line block ×6, first 2 shown]
	s_mov_b32 s10, 0x37e14327
	s_mov_b32 s12, 0x36b3c0b5
	;; [unrolled: 1-line block ×20, first 2 shown]
	s_waitcnt lgkmcnt(0)
	; wave barrier
	s_waitcnt vmcnt(5) lgkmcnt(0)
	v_mul_f64 v[86:87], v[54:55], v[64:65]
	v_mul_f64 v[64:65], v[52:53], v[64:65]
	s_waitcnt vmcnt(4)
	v_mul_f64 v[88:89], v[50:51], v[68:69]
	v_mul_f64 v[68:69], v[48:49], v[68:69]
	s_waitcnt vmcnt(1)
	;; [unrolled: 3-line block ×3, first 2 shown]
	v_mul_f64 v[96:97], v[34:35], v[84:85]
	v_mul_f64 v[84:85], v[32:33], v[84:85]
	;; [unrolled: 1-line block ×6, first 2 shown]
	v_fmac_f64_e32 v[86:87], v[52:53], v[62:63]
	v_fma_f64 v[52:53], v[54:55], v[62:63], -v[64:65]
	v_fmac_f64_e32 v[88:89], v[48:49], v[66:67]
	v_fma_f64 v[48:49], v[50:51], v[66:67], -v[68:69]
	;; [unrolled: 2-line block ×6, first 2 shown]
	v_add_f64 v[34:35], v[86:87], v[96:97]
	v_add_f64 v[38:39], v[52:53], v[32:33]
	;; [unrolled: 1-line block ×4, first 2 shown]
	v_add_f64 v[36:37], v[48:49], -v[36:37]
	v_add_f64 v[48:49], v[90:91], v[92:93]
	v_add_f64 v[54:55], v[44:45], v[40:41]
	v_add_f64 v[40:41], v[40:41], -v[44:45]
	v_add_f64 v[44:45], v[46:47], v[34:35]
	v_add_f64 v[64:65], v[50:51], v[38:39]
	v_add_f64 v[42:43], v[86:87], -v[96:97]
	v_add_f64 v[32:33], v[52:53], -v[32:33]
	v_add_f64 v[52:53], v[88:89], -v[94:95]
	v_add_f64 v[62:63], v[92:93], -v[90:91]
	v_add_f64 v[66:67], v[46:47], -v[34:35]
	v_add_f64 v[34:35], v[34:35], -v[48:49]
	v_add_f64 v[46:47], v[48:49], -v[46:47]
	v_add_f64 v[44:45], v[48:49], v[44:45]
	v_add_f64 v[48:49], v[54:55], v[64:65]
	v_add_f64 v[68:69], v[50:51], -v[38:39]
	v_add_f64 v[38:39], v[38:39], -v[54:55]
	;; [unrolled: 1-line block ×3, first 2 shown]
	v_add_f64 v[70:71], v[62:63], v[52:53]
	v_add_f64 v[72:73], v[40:41], v[36:37]
	v_add_f64 v[74:75], v[62:63], -v[52:53]
	v_add_f64 v[76:77], v[40:41], -v[36:37]
	;; [unrolled: 1-line block ×4, first 2 shown]
	v_add_f64 v[28:29], v[28:29], v[44:45]
	v_add_f64 v[30:31], v[30:31], v[48:49]
	v_add_f64 v[62:63], v[42:43], -v[62:63]
	v_add_f64 v[40:41], v[32:33], -v[40:41]
	v_add_f64 v[42:43], v[70:71], v[42:43]
	v_add_f64 v[32:33], v[72:73], v[32:33]
	v_mul_f64 v[34:35], v[34:35], s[10:11]
	v_mul_f64 v[38:39], v[38:39], s[10:11]
	;; [unrolled: 1-line block ×8, first 2 shown]
	v_mov_b64_e32 v[78:79], v[28:29]
	v_mov_b64_e32 v[80:81], v[30:31]
	v_fmac_f64_e32 v[78:79], s[14:15], v[44:45]
	v_fmac_f64_e32 v[80:81], s[14:15], v[48:49]
	v_fma_f64 v[44:45], v[66:67], s[6:7], -v[54:55]
	v_fma_f64 v[48:49], v[68:69], s[6:7], -v[64:65]
	;; [unrolled: 1-line block ×3, first 2 shown]
	v_fmac_f64_e32 v[34:35], s[12:13], v[46:47]
	v_fma_f64 v[46:47], v[68:69], s[18:19], -v[38:39]
	v_fmac_f64_e32 v[38:39], s[12:13], v[50:51]
	v_fma_f64 v[50:51], v[52:53], s[2:3], -v[70:71]
	;; [unrolled: 2-line block ×4, first 2 shown]
	v_fma_f64 v[64:65], v[40:41], s[22:23], -v[76:77]
	v_add_f64 v[66:67], v[34:35], v[78:79]
	v_add_f64 v[68:69], v[38:39], v[80:81]
	v_add_f64 v[44:45], v[44:45], v[78:79]
	v_add_f64 v[48:49], v[48:49], v[80:81]
	v_add_f64 v[54:55], v[54:55], v[78:79]
	v_add_f64 v[74:75], v[46:47], v[80:81]
	v_fmac_f64_e32 v[70:71], s[20:21], v[42:43]
	v_fmac_f64_e32 v[72:73], s[20:21], v[32:33]
	v_fmac_f64_e32 v[50:51], s[20:21], v[42:43]
	v_fmac_f64_e32 v[52:53], s[20:21], v[32:33]
	v_fmac_f64_e32 v[62:63], s[20:21], v[42:43]
	v_fmac_f64_e32 v[64:65], s[20:21], v[32:33]
	v_add_f64 v[32:33], v[72:73], v[66:67]
	v_add_f64 v[34:35], v[68:69], -v[70:71]
	v_add_f64 v[36:37], v[64:65], v[54:55]
	v_add_f64 v[38:39], v[74:75], -v[62:63]
	v_add_f64 v[40:41], v[44:45], -v[52:53]
	v_add_f64 v[42:43], v[50:51], v[48:49]
	v_add_f64 v[44:45], v[52:53], v[44:45]
	v_add_f64 v[46:47], v[48:49], -v[50:51]
	v_add_f64 v[48:49], v[54:55], -v[64:65]
	v_add_f64 v[50:51], v[62:63], v[74:75]
	v_add_f64 v[52:53], v[66:67], -v[72:73]
	v_add_f64 v[54:55], v[70:71], v[68:69]
	ds_write_b128 v60, v[28:31]
	ds_write_b128 v60, v[32:35] offset:1728
	ds_write_b128 v60, v[36:39] offset:3456
	;; [unrolled: 1-line block ×6, first 2 shown]
	s_and_saveexec_b64 s[26:27], s[0:1]
	s_cbranch_execz .LBB0_17
; %bb.16:
	v_subrev_u32_e32 v28, 45, v58
	v_cndmask_b32_e64 v28, v28, v61, s[0:1]
	v_mul_i32_i24_e32 v28, 6, v28
	v_mov_b32_e32 v29, 0
	v_lshl_add_u64 v[52:53], v[28:29], 4, s[4:5]
	global_load_dwordx4 v[28:31], v[52:53], off offset:1744
	global_load_dwordx4 v[32:35], v[52:53], off offset:1728
	;; [unrolled: 1-line block ×6, first 2 shown]
	s_waitcnt vmcnt(5)
	v_mul_f64 v[52:53], v[2:3], v[30:31]
	s_waitcnt vmcnt(4)
	v_mul_f64 v[54:55], v[18:19], v[34:35]
	;; [unrolled: 2-line block ×6, first 2 shown]
	v_mul_f64 v[38:39], v[12:13], v[38:39]
	v_mul_f64 v[42:43], v[20:21], v[42:43]
	;; [unrolled: 1-line block ×6, first 2 shown]
	v_fmac_f64_e32 v[62:63], v[12:13], v[36:37]
	v_fmac_f64_e32 v[66:67], v[8:9], v[44:45]
	v_fma_f64 v[8:9], v[14:15], v[36:37], -v[38:39]
	v_fma_f64 v[12:13], v[22:23], v[40:41], -v[42:43]
	v_fma_f64 v[10:11], v[10:11], v[44:45], -v[46:47]
	v_fma_f64 v[14:15], v[26:27], v[48:49], -v[50:51]
	v_fmac_f64_e32 v[52:53], v[0:1], v[28:29]
	v_fmac_f64_e32 v[54:55], v[16:17], v[32:33]
	;; [unrolled: 1-line block ×4, first 2 shown]
	v_fma_f64 v[0:1], v[18:19], v[32:33], -v[34:35]
	v_fma_f64 v[2:3], v[2:3], v[28:29], -v[30:31]
	v_add_f64 v[24:25], v[8:9], v[12:13]
	v_add_f64 v[26:27], v[10:11], v[14:15]
	v_add_f64 v[16:17], v[52:53], -v[54:55]
	v_add_f64 v[18:19], v[62:63], -v[64:65]
	;; [unrolled: 1-line block ×3, first 2 shown]
	v_add_f64 v[22:23], v[0:1], v[2:3]
	v_add_f64 v[28:29], v[54:55], v[52:53]
	;; [unrolled: 1-line block ×4, first 2 shown]
	v_add_f64 v[0:1], v[2:3], -v[0:1]
	v_add_f64 v[8:9], v[8:9], -v[12:13]
	v_add_f64 v[36:37], v[24:25], v[26:27]
	v_add_f64 v[12:13], v[10:11], -v[14:15]
	v_add_f64 v[2:3], v[16:17], v[18:19]
	v_add_f64 v[10:11], v[16:17], -v[18:19]
	v_add_f64 v[14:15], v[20:21], -v[16:17]
	;; [unrolled: 1-line block ×5, first 2 shown]
	v_add_f64 v[42:43], v[30:31], v[32:33]
	v_add_f64 v[44:45], v[0:1], v[8:9]
	v_add_f64 v[18:19], v[18:19], -v[20:21]
	v_add_f64 v[22:23], v[22:23], v[36:37]
	v_add_f64 v[38:39], v[28:29], -v[30:31]
	v_add_f64 v[46:47], v[0:1], -v[8:9]
	;; [unrolled: 1-line block ×4, first 2 shown]
	v_add_f64 v[20:21], v[2:3], v[20:21]
	v_mul_f64 v[30:31], v[10:11], s[16:17]
	v_mul_f64 v[36:37], v[40:41], s[10:11]
	v_add_f64 v[28:29], v[28:29], v[42:43]
	v_add_f64 v[40:41], v[44:45], v[12:13]
	v_mul_f64 v[44:45], v[18:19], s[2:3]
	v_add_f64 v[2:3], v[6:7], v[22:23]
	v_add_f64 v[48:49], v[12:13], -v[0:1]
	v_mul_f64 v[10:11], v[34:35], s[10:11]
	v_mul_f64 v[42:43], v[46:47], s[16:17]
	v_fma_f64 v[46:47], s[24:25], v[14:15], v[30:31]
	v_add_f64 v[0:1], v[4:5], v[28:29]
	v_fma_f64 v[44:45], v[14:15], s[22:23], -v[44:45]
	v_mov_b64_e32 v[14:15], v[2:3]
	v_mul_f64 v[32:33], v[16:17], s[12:13]
	v_fma_f64 v[16:17], s[12:13], v[16:17], v[10:11]
	v_mov_b64_e32 v[50:51], v[0:1]
	v_fmac_f64_e32 v[14:15], s[14:15], v[22:23]
	v_add_f64 v[12:13], v[8:9], -v[12:13]
	v_mul_f64 v[34:35], v[38:39], s[12:13]
	v_fmac_f64_e32 v[50:51], s[14:15], v[28:29]
	v_add_f64 v[28:29], v[16:17], v[14:15]
	v_fma_f64 v[16:17], v[26:27], s[18:19], -v[36:37]
	v_mul_f64 v[8:9], v[12:13], s[2:3]
	v_fma_f64 v[18:19], v[18:19], s[2:3], -v[30:31]
	v_fma_f64 v[6:7], s[12:13], v[38:39], v[36:37]
	v_fma_f64 v[38:39], s[24:25], v[48:49], v[42:43]
	v_fma_f64 v[4:5], v[24:25], s[18:19], -v[10:11]
	v_fmac_f64_e32 v[46:47], s[20:21], v[20:21]
	v_fmac_f64_e32 v[44:45], s[20:21], v[20:21]
	v_add_f64 v[36:37], v[16:17], v[50:51]
	v_fma_f64 v[48:49], v[48:49], s[22:23], -v[8:9]
	v_fma_f64 v[16:17], v[24:25], s[6:7], -v[32:33]
	v_fmac_f64_e32 v[18:19], s[20:21], v[20:21]
	v_fma_f64 v[20:21], v[12:13], s[2:3], -v[42:43]
	v_fma_f64 v[12:13], v[26:27], s[6:7], -v[34:35]
	v_fmac_f64_e32 v[38:39], s[20:21], v[40:41]
	v_add_f64 v[52:53], v[6:7], v[50:51]
	v_add_f64 v[22:23], v[4:5], v[14:15]
	v_fmac_f64_e32 v[48:49], s[20:21], v[40:41]
	v_add_f64 v[16:17], v[16:17], v[14:15]
	v_fmac_f64_e32 v[20:21], s[20:21], v[40:41]
	v_add_f64 v[24:25], v[12:13], v[50:51]
	v_add_f64 v[6:7], v[46:47], v[28:29]
	v_add_f64 v[4:5], v[52:53], -v[38:39]
	v_add_f64 v[10:11], v[44:45], v[22:23]
	v_add_f64 v[8:9], v[36:37], -v[48:49]
	v_add_f64 v[14:15], v[16:17], -v[18:19]
	v_add_f64 v[12:13], v[20:21], v[24:25]
	v_add_f64 v[18:19], v[18:19], v[16:17]
	v_add_f64 v[16:17], v[24:25], -v[20:21]
	v_add_f64 v[22:23], v[22:23], -v[44:45]
	v_add_f64 v[20:21], v[48:49], v[36:37]
	v_add_f64 v[26:27], v[28:29], -v[46:47]
	v_add_f64 v[24:25], v[38:39], v[52:53]
	ds_write_b128 v60, v[0:3] offset:1008
	ds_write_b128 v60, v[24:27] offset:2736
	;; [unrolled: 1-line block ×7, first 2 shown]
.LBB0_17:
	s_or_b64 exec, exec, s[26:27]
	s_waitcnt lgkmcnt(0)
	; wave barrier
	s_waitcnt lgkmcnt(0)
	s_and_saveexec_b64 s[0:1], vcc
	s_cbranch_execz .LBB0_19
; %bb.18:
	v_mad_u64_u32 v[4:5], s[0:1], s8, v58, 0
	ds_read_b128 v[0:3], v60
	v_mov_b32_e32 v6, v5
	v_mad_u64_u32 v[6:7], s[0:1], s9, v58, v[6:7]
	v_mov_b32_e32 v5, v6
	v_lshl_add_u64 v[8:9], v[4:5], 4, v[56:57]
	ds_read_b128 v[4:7], v60 offset:1008
	s_waitcnt lgkmcnt(1)
	global_store_dwordx4 v[8:9], v[0:3], off
	s_nop 1
	v_mad_u64_u32 v[0:1], s[0:1], s8, v59, 0
	v_mov_b32_e32 v2, v1
	v_mad_u64_u32 v[2:3], s[0:1], s9, v59, v[2:3]
	v_mov_b32_e32 v1, v2
	v_lshl_add_u64 v[0:1], v[0:1], 4, v[56:57]
	s_waitcnt lgkmcnt(0)
	global_store_dwordx4 v[0:1], v[4:7], off
	ds_read_b128 v[0:3], v60 offset:2016
	s_nop 0
	v_add_u32_e32 v7, 0x7e, v58
	v_mad_u64_u32 v[4:5], s[0:1], s8, v7, 0
	v_mov_b32_e32 v6, v5
	v_mad_u64_u32 v[6:7], s[0:1], s9, v7, v[6:7]
	v_mov_b32_e32 v5, v6
	v_lshl_add_u64 v[8:9], v[4:5], 4, v[56:57]
	ds_read_b128 v[4:7], v60 offset:3024
	s_waitcnt lgkmcnt(1)
	global_store_dwordx4 v[8:9], v[0:3], off
	s_nop 1
	v_add_u32_e32 v3, 0xbd, v58
	v_mad_u64_u32 v[0:1], s[0:1], s8, v3, 0
	v_mov_b32_e32 v2, v1
	v_mad_u64_u32 v[2:3], s[0:1], s9, v3, v[2:3]
	v_mov_b32_e32 v1, v2
	v_lshl_add_u64 v[0:1], v[0:1], 4, v[56:57]
	s_waitcnt lgkmcnt(0)
	global_store_dwordx4 v[0:1], v[4:7], off
	ds_read_b128 v[0:3], v60 offset:4032
	s_nop 0
	v_add_u32_e32 v7, 0xfc, v58
	v_mad_u64_u32 v[4:5], s[0:1], s8, v7, 0
	v_mov_b32_e32 v6, v5
	v_mad_u64_u32 v[6:7], s[0:1], s9, v7, v[6:7]
	v_mov_b32_e32 v5, v6
	v_lshl_add_u64 v[8:9], v[4:5], 4, v[56:57]
	ds_read_b128 v[4:7], v60 offset:5040
	s_waitcnt lgkmcnt(1)
	global_store_dwordx4 v[8:9], v[0:3], off
	s_nop 1
	v_add_u32_e32 v3, 0x13b, v58
	;; [unrolled: 20-line block ×5, first 2 shown]
	v_mad_u64_u32 v[0:1], s[0:1], s8, v3, 0
	v_mov_b32_e32 v2, v1
	v_mad_u64_u32 v[2:3], s[0:1], s9, v3, v[2:3]
	v_mov_b32_e32 v1, v2
	v_lshl_add_u64 v[0:1], v[0:1], 4, v[56:57]
	s_waitcnt lgkmcnt(0)
	global_store_dwordx4 v[0:1], v[4:7], off
.LBB0_19:
	s_endpgm
	.section	.rodata,"a",@progbits
	.p2align	6, 0x0
	.amdhsa_kernel fft_rtc_back_len756_factors_2_2_3_3_3_7_wgs_63_tpt_63_dp_ip_CI_sbrr_dirReg
		.amdhsa_group_segment_fixed_size 0
		.amdhsa_private_segment_fixed_size 0
		.amdhsa_kernarg_size 88
		.amdhsa_user_sgpr_count 2
		.amdhsa_user_sgpr_dispatch_ptr 0
		.amdhsa_user_sgpr_queue_ptr 0
		.amdhsa_user_sgpr_kernarg_segment_ptr 1
		.amdhsa_user_sgpr_dispatch_id 0
		.amdhsa_user_sgpr_kernarg_preload_length 0
		.amdhsa_user_sgpr_kernarg_preload_offset 0
		.amdhsa_user_sgpr_private_segment_size 0
		.amdhsa_uses_dynamic_stack 0
		.amdhsa_enable_private_segment 0
		.amdhsa_system_sgpr_workgroup_id_x 1
		.amdhsa_system_sgpr_workgroup_id_y 0
		.amdhsa_system_sgpr_workgroup_id_z 0
		.amdhsa_system_sgpr_workgroup_info 0
		.amdhsa_system_vgpr_workitem_id 0
		.amdhsa_next_free_vgpr 98
		.amdhsa_next_free_sgpr 28
		.amdhsa_accum_offset 100
		.amdhsa_reserve_vcc 1
		.amdhsa_float_round_mode_32 0
		.amdhsa_float_round_mode_16_64 0
		.amdhsa_float_denorm_mode_32 3
		.amdhsa_float_denorm_mode_16_64 3
		.amdhsa_dx10_clamp 1
		.amdhsa_ieee_mode 1
		.amdhsa_fp16_overflow 0
		.amdhsa_tg_split 0
		.amdhsa_exception_fp_ieee_invalid_op 0
		.amdhsa_exception_fp_denorm_src 0
		.amdhsa_exception_fp_ieee_div_zero 0
		.amdhsa_exception_fp_ieee_overflow 0
		.amdhsa_exception_fp_ieee_underflow 0
		.amdhsa_exception_fp_ieee_inexact 0
		.amdhsa_exception_int_div_zero 0
	.end_amdhsa_kernel
	.text
.Lfunc_end0:
	.size	fft_rtc_back_len756_factors_2_2_3_3_3_7_wgs_63_tpt_63_dp_ip_CI_sbrr_dirReg, .Lfunc_end0-fft_rtc_back_len756_factors_2_2_3_3_3_7_wgs_63_tpt_63_dp_ip_CI_sbrr_dirReg
                                        ; -- End function
	.section	.AMDGPU.csdata,"",@progbits
; Kernel info:
; codeLenInByte = 9552
; NumSgprs: 34
; NumVgprs: 98
; NumAgprs: 0
; TotalNumVgprs: 98
; ScratchSize: 0
; MemoryBound: 0
; FloatMode: 240
; IeeeMode: 1
; LDSByteSize: 0 bytes/workgroup (compile time only)
; SGPRBlocks: 4
; VGPRBlocks: 12
; NumSGPRsForWavesPerEU: 34
; NumVGPRsForWavesPerEU: 98
; AccumOffset: 100
; Occupancy: 4
; WaveLimiterHint : 1
; COMPUTE_PGM_RSRC2:SCRATCH_EN: 0
; COMPUTE_PGM_RSRC2:USER_SGPR: 2
; COMPUTE_PGM_RSRC2:TRAP_HANDLER: 0
; COMPUTE_PGM_RSRC2:TGID_X_EN: 1
; COMPUTE_PGM_RSRC2:TGID_Y_EN: 0
; COMPUTE_PGM_RSRC2:TGID_Z_EN: 0
; COMPUTE_PGM_RSRC2:TIDIG_COMP_CNT: 0
; COMPUTE_PGM_RSRC3_GFX90A:ACCUM_OFFSET: 24
; COMPUTE_PGM_RSRC3_GFX90A:TG_SPLIT: 0
	.text
	.p2alignl 6, 3212836864
	.fill 256, 4, 3212836864
	.type	__hip_cuid_fa6d13d8c0f1d03d,@object ; @__hip_cuid_fa6d13d8c0f1d03d
	.section	.bss,"aw",@nobits
	.globl	__hip_cuid_fa6d13d8c0f1d03d
__hip_cuid_fa6d13d8c0f1d03d:
	.byte	0                               ; 0x0
	.size	__hip_cuid_fa6d13d8c0f1d03d, 1

	.ident	"AMD clang version 19.0.0git (https://github.com/RadeonOpenCompute/llvm-project roc-6.4.0 25133 c7fe45cf4b819c5991fe208aaa96edf142730f1d)"
	.section	".note.GNU-stack","",@progbits
	.addrsig
	.addrsig_sym __hip_cuid_fa6d13d8c0f1d03d
	.amdgpu_metadata
---
amdhsa.kernels:
  - .agpr_count:     0
    .args:
      - .actual_access:  read_only
        .address_space:  global
        .offset:         0
        .size:           8
        .value_kind:     global_buffer
      - .offset:         8
        .size:           8
        .value_kind:     by_value
      - .actual_access:  read_only
        .address_space:  global
        .offset:         16
        .size:           8
        .value_kind:     global_buffer
      - .actual_access:  read_only
        .address_space:  global
        .offset:         24
        .size:           8
        .value_kind:     global_buffer
      - .offset:         32
        .size:           8
        .value_kind:     by_value
      - .actual_access:  read_only
        .address_space:  global
        .offset:         40
        .size:           8
        .value_kind:     global_buffer
      - .actual_access:  read_only
        .address_space:  global
        .offset:         48
        .size:           8
        .value_kind:     global_buffer
      - .offset:         56
        .size:           4
        .value_kind:     by_value
      - .actual_access:  read_only
        .address_space:  global
        .offset:         64
        .size:           8
        .value_kind:     global_buffer
      - .actual_access:  read_only
        .address_space:  global
        .offset:         72
        .size:           8
        .value_kind:     global_buffer
      - .address_space:  global
        .offset:         80
        .size:           8
        .value_kind:     global_buffer
    .group_segment_fixed_size: 0
    .kernarg_segment_align: 8
    .kernarg_segment_size: 88
    .language:       OpenCL C
    .language_version:
      - 2
      - 0
    .max_flat_workgroup_size: 63
    .name:           fft_rtc_back_len756_factors_2_2_3_3_3_7_wgs_63_tpt_63_dp_ip_CI_sbrr_dirReg
    .private_segment_fixed_size: 0
    .sgpr_count:     34
    .sgpr_spill_count: 0
    .symbol:         fft_rtc_back_len756_factors_2_2_3_3_3_7_wgs_63_tpt_63_dp_ip_CI_sbrr_dirReg.kd
    .uniform_work_group_size: 1
    .uses_dynamic_stack: false
    .vgpr_count:     98
    .vgpr_spill_count: 0
    .wavefront_size: 64
amdhsa.target:   amdgcn-amd-amdhsa--gfx950
amdhsa.version:
  - 1
  - 2
...

	.end_amdgpu_metadata
